;; amdgpu-corpus repo=ROCm/rocFFT kind=compiled arch=gfx1030 opt=O3
	.text
	.amdgcn_target "amdgcn-amd-amdhsa--gfx1030"
	.amdhsa_code_object_version 6
	.protected	fft_rtc_back_len810_factors_3_10_3_3_3_wgs_81_tpt_81_halfLds_half_ip_CI_unitstride_sbrr_dirReg ; -- Begin function fft_rtc_back_len810_factors_3_10_3_3_3_wgs_81_tpt_81_halfLds_half_ip_CI_unitstride_sbrr_dirReg
	.globl	fft_rtc_back_len810_factors_3_10_3_3_3_wgs_81_tpt_81_halfLds_half_ip_CI_unitstride_sbrr_dirReg
	.p2align	8
	.type	fft_rtc_back_len810_factors_3_10_3_3_3_wgs_81_tpt_81_halfLds_half_ip_CI_unitstride_sbrr_dirReg,@function
fft_rtc_back_len810_factors_3_10_3_3_3_wgs_81_tpt_81_halfLds_half_ip_CI_unitstride_sbrr_dirReg: ; @fft_rtc_back_len810_factors_3_10_3_3_3_wgs_81_tpt_81_halfLds_half_ip_CI_unitstride_sbrr_dirReg
; %bb.0:
	s_clause 0x2
	s_load_dwordx4 s[8:11], s[4:5], 0x0
	s_load_dwordx2 s[2:3], s[4:5], 0x50
	s_load_dwordx2 s[12:13], s[4:5], 0x18
	v_mul_u32_u24_e32 v1, 0x32a, v0
	v_mov_b32_e32 v3, 0
	v_add_nc_u32_sdwa v5, s6, v1 dst_sel:DWORD dst_unused:UNUSED_PAD src0_sel:DWORD src1_sel:WORD_1
	v_mov_b32_e32 v1, 0
	v_mov_b32_e32 v6, v3
	v_mov_b32_e32 v2, 0
	s_waitcnt lgkmcnt(0)
	v_cmp_lt_u64_e64 s0, s[10:11], 2
	s_and_b32 vcc_lo, exec_lo, s0
	s_cbranch_vccnz .LBB0_8
; %bb.1:
	s_load_dwordx2 s[0:1], s[4:5], 0x10
	v_mov_b32_e32 v1, 0
	s_add_u32 s6, s12, 8
	v_mov_b32_e32 v2, 0
	s_addc_u32 s7, s13, 0
	s_mov_b64 s[16:17], 1
	s_waitcnt lgkmcnt(0)
	s_add_u32 s14, s0, 8
	s_addc_u32 s15, s1, 0
.LBB0_2:                                ; =>This Inner Loop Header: Depth=1
	s_load_dwordx2 s[18:19], s[14:15], 0x0
                                        ; implicit-def: $vgpr7_vgpr8
	s_mov_b32 s0, exec_lo
	s_waitcnt lgkmcnt(0)
	v_or_b32_e32 v4, s19, v6
	v_cmpx_ne_u64_e32 0, v[3:4]
	s_xor_b32 s1, exec_lo, s0
	s_cbranch_execz .LBB0_4
; %bb.3:                                ;   in Loop: Header=BB0_2 Depth=1
	v_cvt_f32_u32_e32 v4, s18
	v_cvt_f32_u32_e32 v7, s19
	s_sub_u32 s0, 0, s18
	s_subb_u32 s20, 0, s19
	v_fmac_f32_e32 v4, 0x4f800000, v7
	v_rcp_f32_e32 v4, v4
	v_mul_f32_e32 v4, 0x5f7ffffc, v4
	v_mul_f32_e32 v7, 0x2f800000, v4
	v_trunc_f32_e32 v7, v7
	v_fmac_f32_e32 v4, 0xcf800000, v7
	v_cvt_u32_f32_e32 v7, v7
	v_cvt_u32_f32_e32 v4, v4
	v_mul_lo_u32 v8, s0, v7
	v_mul_hi_u32 v9, s0, v4
	v_mul_lo_u32 v10, s20, v4
	v_add_nc_u32_e32 v8, v9, v8
	v_mul_lo_u32 v9, s0, v4
	v_add_nc_u32_e32 v8, v8, v10
	v_mul_hi_u32 v10, v4, v9
	v_mul_lo_u32 v11, v4, v8
	v_mul_hi_u32 v12, v4, v8
	v_mul_hi_u32 v13, v7, v9
	v_mul_lo_u32 v9, v7, v9
	v_mul_hi_u32 v14, v7, v8
	v_mul_lo_u32 v8, v7, v8
	v_add_co_u32 v10, vcc_lo, v10, v11
	v_add_co_ci_u32_e32 v11, vcc_lo, 0, v12, vcc_lo
	v_add_co_u32 v9, vcc_lo, v10, v9
	v_add_co_ci_u32_e32 v9, vcc_lo, v11, v13, vcc_lo
	v_add_co_ci_u32_e32 v10, vcc_lo, 0, v14, vcc_lo
	v_add_co_u32 v8, vcc_lo, v9, v8
	v_add_co_ci_u32_e32 v9, vcc_lo, 0, v10, vcc_lo
	v_add_co_u32 v4, vcc_lo, v4, v8
	v_add_co_ci_u32_e32 v7, vcc_lo, v7, v9, vcc_lo
	v_mul_hi_u32 v8, s0, v4
	v_mul_lo_u32 v10, s20, v4
	v_mul_lo_u32 v9, s0, v7
	v_add_nc_u32_e32 v8, v8, v9
	v_mul_lo_u32 v9, s0, v4
	v_add_nc_u32_e32 v8, v8, v10
	v_mul_hi_u32 v10, v4, v9
	v_mul_lo_u32 v11, v4, v8
	v_mul_hi_u32 v12, v4, v8
	v_mul_hi_u32 v13, v7, v9
	v_mul_lo_u32 v9, v7, v9
	v_mul_hi_u32 v14, v7, v8
	v_mul_lo_u32 v8, v7, v8
	v_add_co_u32 v10, vcc_lo, v10, v11
	v_add_co_ci_u32_e32 v11, vcc_lo, 0, v12, vcc_lo
	v_add_co_u32 v9, vcc_lo, v10, v9
	v_add_co_ci_u32_e32 v9, vcc_lo, v11, v13, vcc_lo
	v_add_co_ci_u32_e32 v10, vcc_lo, 0, v14, vcc_lo
	v_add_co_u32 v8, vcc_lo, v9, v8
	v_add_co_ci_u32_e32 v9, vcc_lo, 0, v10, vcc_lo
	v_add_co_u32 v4, vcc_lo, v4, v8
	v_add_co_ci_u32_e32 v11, vcc_lo, v7, v9, vcc_lo
	v_mul_hi_u32 v13, v5, v4
	v_mad_u64_u32 v[9:10], null, v6, v4, 0
	v_mad_u64_u32 v[7:8], null, v5, v11, 0
	;; [unrolled: 1-line block ×3, first 2 shown]
	v_add_co_u32 v4, vcc_lo, v13, v7
	v_add_co_ci_u32_e32 v7, vcc_lo, 0, v8, vcc_lo
	v_add_co_u32 v4, vcc_lo, v4, v9
	v_add_co_ci_u32_e32 v4, vcc_lo, v7, v10, vcc_lo
	v_add_co_ci_u32_e32 v7, vcc_lo, 0, v12, vcc_lo
	v_add_co_u32 v4, vcc_lo, v4, v11
	v_add_co_ci_u32_e32 v9, vcc_lo, 0, v7, vcc_lo
	v_mul_lo_u32 v10, s19, v4
	v_mad_u64_u32 v[7:8], null, s18, v4, 0
	v_mul_lo_u32 v11, s18, v9
	v_sub_co_u32 v7, vcc_lo, v5, v7
	v_add3_u32 v8, v8, v11, v10
	v_sub_nc_u32_e32 v10, v6, v8
	v_subrev_co_ci_u32_e64 v10, s0, s19, v10, vcc_lo
	v_add_co_u32 v11, s0, v4, 2
	v_add_co_ci_u32_e64 v12, s0, 0, v9, s0
	v_sub_co_u32 v13, s0, v7, s18
	v_sub_co_ci_u32_e32 v8, vcc_lo, v6, v8, vcc_lo
	v_subrev_co_ci_u32_e64 v10, s0, 0, v10, s0
	v_cmp_le_u32_e32 vcc_lo, s18, v13
	v_cmp_eq_u32_e64 s0, s19, v8
	v_cndmask_b32_e64 v13, 0, -1, vcc_lo
	v_cmp_le_u32_e32 vcc_lo, s19, v10
	v_cndmask_b32_e64 v14, 0, -1, vcc_lo
	v_cmp_le_u32_e32 vcc_lo, s18, v7
	;; [unrolled: 2-line block ×3, first 2 shown]
	v_cndmask_b32_e64 v15, 0, -1, vcc_lo
	v_cmp_eq_u32_e32 vcc_lo, s19, v10
	v_cndmask_b32_e64 v7, v15, v7, s0
	v_cndmask_b32_e32 v10, v14, v13, vcc_lo
	v_add_co_u32 v13, vcc_lo, v4, 1
	v_add_co_ci_u32_e32 v14, vcc_lo, 0, v9, vcc_lo
	v_cmp_ne_u32_e32 vcc_lo, 0, v10
	v_cndmask_b32_e32 v8, v14, v12, vcc_lo
	v_cndmask_b32_e32 v10, v13, v11, vcc_lo
	v_cmp_ne_u32_e32 vcc_lo, 0, v7
	v_cndmask_b32_e32 v8, v9, v8, vcc_lo
	v_cndmask_b32_e32 v7, v4, v10, vcc_lo
.LBB0_4:                                ;   in Loop: Header=BB0_2 Depth=1
	s_andn2_saveexec_b32 s0, s1
	s_cbranch_execz .LBB0_6
; %bb.5:                                ;   in Loop: Header=BB0_2 Depth=1
	v_cvt_f32_u32_e32 v4, s18
	s_sub_i32 s1, 0, s18
	v_rcp_iflag_f32_e32 v4, v4
	v_mul_f32_e32 v4, 0x4f7ffffe, v4
	v_cvt_u32_f32_e32 v4, v4
	v_mul_lo_u32 v7, s1, v4
	v_mul_hi_u32 v7, v4, v7
	v_add_nc_u32_e32 v4, v4, v7
	v_mul_hi_u32 v4, v5, v4
	v_mul_lo_u32 v7, v4, s18
	v_add_nc_u32_e32 v8, 1, v4
	v_sub_nc_u32_e32 v7, v5, v7
	v_subrev_nc_u32_e32 v9, s18, v7
	v_cmp_le_u32_e32 vcc_lo, s18, v7
	v_cndmask_b32_e32 v7, v7, v9, vcc_lo
	v_cndmask_b32_e32 v4, v4, v8, vcc_lo
	v_cmp_le_u32_e32 vcc_lo, s18, v7
	v_add_nc_u32_e32 v8, 1, v4
	v_cndmask_b32_e32 v7, v4, v8, vcc_lo
	v_mov_b32_e32 v8, v3
.LBB0_6:                                ;   in Loop: Header=BB0_2 Depth=1
	s_or_b32 exec_lo, exec_lo, s0
	s_load_dwordx2 s[0:1], s[6:7], 0x0
	v_mul_lo_u32 v4, v8, s18
	v_mul_lo_u32 v11, v7, s19
	v_mad_u64_u32 v[9:10], null, v7, s18, 0
	s_add_u32 s16, s16, 1
	s_addc_u32 s17, s17, 0
	s_add_u32 s6, s6, 8
	s_addc_u32 s7, s7, 0
	;; [unrolled: 2-line block ×3, first 2 shown]
	v_add3_u32 v4, v10, v11, v4
	v_sub_co_u32 v5, vcc_lo, v5, v9
	v_sub_co_ci_u32_e32 v4, vcc_lo, v6, v4, vcc_lo
	s_waitcnt lgkmcnt(0)
	v_mul_lo_u32 v6, s1, v5
	v_mul_lo_u32 v4, s0, v4
	v_mad_u64_u32 v[1:2], null, s0, v5, v[1:2]
	v_cmp_ge_u64_e64 s0, s[16:17], s[10:11]
	s_and_b32 vcc_lo, exec_lo, s0
	v_add3_u32 v2, v6, v2, v4
	s_cbranch_vccnz .LBB0_9
; %bb.7:                                ;   in Loop: Header=BB0_2 Depth=1
	v_mov_b32_e32 v5, v7
	v_mov_b32_e32 v6, v8
	s_branch .LBB0_2
.LBB0_8:
	v_mov_b32_e32 v8, v6
	v_mov_b32_e32 v7, v5
.LBB0_9:
	s_lshl_b64 s[0:1], s[10:11], 3
	v_mul_hi_u32 v5, 0x3291620, v0
	s_add_u32 s0, s12, s0
	s_addc_u32 s1, s13, s1
                                        ; implicit-def: $vgpr17
                                        ; implicit-def: $vgpr22
                                        ; implicit-def: $vgpr15
                                        ; implicit-def: $vgpr21
                                        ; implicit-def: $vgpr14
                                        ; implicit-def: $vgpr9
                                        ; implicit-def: $vgpr6
                                        ; implicit-def: $vgpr23
                                        ; implicit-def: $vgpr16
                                        ; implicit-def: $vgpr20
                                        ; implicit-def: $vgpr10
                                        ; implicit-def: $vgpr27
                                        ; implicit-def: $vgpr11
                                        ; implicit-def: $vgpr24
                                        ; implicit-def: $vgpr18
                                        ; implicit-def: $vgpr26
                                        ; implicit-def: $vgpr12
                                        ; implicit-def: $vgpr28
                                        ; implicit-def: $vgpr13
                                        ; implicit-def: $vgpr25
                                        ; implicit-def: $vgpr19
	s_load_dwordx2 s[0:1], s[0:1], 0x0
	s_load_dwordx2 s[4:5], s[4:5], 0x20
	s_waitcnt lgkmcnt(0)
	v_mul_lo_u32 v3, s0, v8
	v_mul_lo_u32 v4, s1, v7
	v_mad_u64_u32 v[1:2], null, s0, v7, v[1:2]
	v_cmp_gt_u64_e64 s0, s[4:5], v[7:8]
                                        ; implicit-def: $vgpr8
                                        ; implicit-def: $vgpr7
	v_add3_u32 v2, v4, v2, v3
	v_mul_u32_u24_e32 v4, 0x51, v5
	v_lshlrev_b64 v[2:3], 2, v[1:2]
	v_sub_nc_u32_e32 v0, v0, v4
                                        ; implicit-def: $vgpr1
	s_and_saveexec_b32 s1, s0
	s_cbranch_execz .LBB0_13
; %bb.10:
	v_mov_b32_e32 v1, 0
	s_mov_b32 s4, exec_lo
                                        ; implicit-def: $vgpr14
                                        ; implicit-def: $vgpr8
                                        ; implicit-def: $vgpr21
                                        ; implicit-def: $vgpr15
                                        ; implicit-def: $vgpr22
                                        ; implicit-def: $vgpr17
	v_lshlrev_b64 v[4:5], 2, v[0:1]
	v_add_co_u32 v1, vcc_lo, s2, v2
	v_add_co_ci_u32_e32 v7, vcc_lo, s3, v3, vcc_lo
	v_add_co_u32 v6, vcc_lo, v1, v4
	v_add_co_ci_u32_e32 v7, vcc_lo, v7, v5, vcc_lo
	;; [unrolled: 2-line block ×3, first 2 shown]
	s_clause 0x8
	global_load_dword v19, v[6:7], off
	global_load_dword v18, v[6:7], off offset:324
	global_load_dword v11, v[6:7], off offset:1404
	global_load_dword v10, v[4:5], off offset:436
	global_load_dword v12, v[4:5], off offset:112
	global_load_dword v1, v[6:7], off offset:1728
	global_load_dword v13, v[6:7], off offset:1080
	global_load_dword v16, v[6:7], off offset:648
	global_load_dword v9, v[4:5], off offset:760
	v_cmpx_gt_u32_e32 27, v0
	s_cbranch_execz .LBB0_12
; %bb.11:
	s_clause 0x2
	global_load_dword v14, v[6:7], off offset:972
	global_load_dword v21, v[4:5], off offset:4
	;; [unrolled: 1-line block ×3, first 2 shown]
	s_waitcnt vmcnt(2)
	v_lshrrev_b32_e32 v8, 16, v14
	s_waitcnt vmcnt(1)
	v_lshrrev_b32_e32 v15, 16, v21
	;; [unrolled: 2-line block ×3, first 2 shown]
.LBB0_12:
	s_or_b32 exec_lo, exec_lo, s4
	s_waitcnt vmcnt(8)
	v_lshrrev_b32_e32 v25, 16, v19
	s_waitcnt vmcnt(2)
	v_lshrrev_b32_e32 v28, 16, v13
	v_lshrrev_b32_e32 v26, 16, v12
	;; [unrolled: 1-line block ×5, first 2 shown]
	s_waitcnt vmcnt(1)
	v_lshrrev_b32_e32 v23, 16, v16
	v_lshrrev_b32_e32 v6, 16, v1
	s_waitcnt vmcnt(0)
	v_lshrrev_b32_e32 v7, 16, v9
.LBB0_13:
	s_or_b32 exec_lo, exec_lo, s1
	v_add_f16_e32 v4, v12, v13
	v_add_f16_e32 v5, v13, v19
	;; [unrolled: 1-line block ×3, first 2 shown]
	v_sub_f16_e32 v29, v28, v26
	v_sub_f16_e32 v31, v27, v20
	v_fmac_f16_e32 v19, -0.5, v4
	v_add_f16_e32 v4, v11, v18
	v_add_f16_e32 v32, v12, v5
	;; [unrolled: 1-line block ×3, first 2 shown]
	v_fmac_f16_e32 v18, -0.5, v30
	v_fmamk_f16 v30, v29, 0xbaee, v19
	v_add_f16_e32 v33, v10, v4
	v_add_f16_e32 v4, v9, v1
	v_fmac_f16_e32 v19, 0x3aee, v29
	v_add_f16_e32 v29, v1, v16
	v_sub_f16_e32 v35, v15, v17
	v_fmamk_f16 v34, v31, 0xbaee, v18
	v_fmac_f16_e32 v16, -0.5, v4
	v_fma_f16 v4, -0.5, v5, v14
	v_fmac_f16_e32 v18, 0x3aee, v31
	v_sub_f16_e32 v31, v6, v7
	v_add_f16_e32 v36, v9, v29
	v_mad_u32_u24 v29, v0, 6, 0
	v_fmamk_f16 v5, v35, 0xbaee, v4
	v_fmac_f16_e32 v4, 0x3aee, v35
	v_cmp_gt_u32_e32 vcc_lo, 27, v0
	v_fmamk_f16 v37, v31, 0xbaee, v16
	v_fmac_f16_e32 v16, 0x3aee, v31
	ds_write_b16 v29, v32
	ds_write_b16 v29, v30 offset:2
	ds_write_b16 v29, v19 offset:4
	;; [unrolled: 1-line block ×8, first 2 shown]
	s_and_saveexec_b32 s1, vcc_lo
	s_cbranch_execz .LBB0_15
; %bb.14:
	v_add_f16_e32 v14, v21, v14
	v_add_f16_e32 v14, v22, v14
	ds_write_b16 v29, v5 offset:1460
	ds_write_b16 v29, v14 offset:1458
	;; [unrolled: 1-line block ×3, first 2 shown]
.LBB0_15:
	s_or_b32 exec_lo, exec_lo, s1
	v_add_f16_e32 v14, v26, v28
	v_add_f16_e32 v16, v28, v25
	v_sub_f16_e32 v12, v13, v12
	v_add_f16_e32 v13, v20, v27
	v_sub_f16_e32 v33, v1, v9
	v_fmac_f16_e32 v25, -0.5, v14
	v_add_f16_e32 v14, v27, v24
	v_sub_f16_e32 v27, v11, v10
	v_lshlrev_b32_e32 v11, 2, v0
	v_add_f16_e32 v10, v7, v6
	v_fmamk_f16 v28, v12, 0x3aee, v25
	v_fmac_f16_e32 v25, 0xbaee, v12
	v_add_f16_e32 v12, v17, v15
	v_sub_nc_u32_e32 v1, v29, v11
	v_add_f16_e32 v26, v26, v16
	v_fmac_f16_e32 v24, -0.5, v13
	v_add_f16_e32 v30, v20, v14
	v_add_f16_e32 v32, v6, v23
	v_fmac_f16_e32 v23, -0.5, v10
	v_fma_f16 v6, -0.5, v12, v8
	s_waitcnt lgkmcnt(0)
	s_barrier
	buffer_gl0_inv
	ds_read_u16 v9, v1
	ds_read_u16 v20, v1 offset:162
	ds_read_u16 v19, v1 offset:324
	;; [unrolled: 1-line block ×9, first 2 shown]
	v_sub_f16_e32 v21, v21, v22
	v_add_f16_e32 v22, v7, v32
	v_fmamk_f16 v31, v27, 0x3aee, v24
	v_fmac_f16_e32 v24, 0xbaee, v27
	v_fmamk_f16 v27, v33, 0x3aee, v23
	v_fmamk_f16 v7, v21, 0x3aee, v6
	v_fmac_f16_e32 v6, 0xbaee, v21
	v_fmac_f16_e32 v23, 0xbaee, v33
	s_waitcnt lgkmcnt(0)
	s_barrier
	buffer_gl0_inv
	ds_write_b16 v29, v26
	ds_write_b16 v29, v28 offset:2
	ds_write_b16 v29, v25 offset:4
	;; [unrolled: 1-line block ×8, first 2 shown]
	s_and_saveexec_b32 s1, vcc_lo
	s_cbranch_execz .LBB0_17
; %bb.16:
	v_add_f16_e32 v8, v15, v8
	v_add_f16_e32 v8, v17, v8
	ds_write_b16 v29, v7 offset:1460
	ds_write_b16 v29, v8 offset:1458
	;; [unrolled: 1-line block ×3, first 2 shown]
.LBB0_17:
	s_or_b32 exec_lo, exec_lo, s1
	v_and_b32_e32 v8, 0xff, v0
	v_mov_b32_e32 v21, 9
	s_waitcnt lgkmcnt(0)
	s_barrier
	buffer_gl0_inv
	v_mul_lo_u16 v15, 0xab, v8
	v_mov_b32_e32 v26, 60
	v_mov_b32_e32 v27, 1
	v_lshrrev_b16 v15, 9, v15
	v_mul_lo_u16 v17, v15, 3
	v_mul_u32_u24_sdwa v15, v15, v26 dst_sel:DWORD dst_unused:UNUSED_PAD src0_sel:WORD_0 src1_sel:DWORD
	v_sub_nc_u16 v17, v0, v17
	v_mul_u32_u24_sdwa v21, v17, v21 dst_sel:DWORD dst_unused:UNUSED_PAD src0_sel:BYTE_0 src1_sel:DWORD
	v_lshlrev_b32_sdwa v17, v27, v17 dst_sel:DWORD dst_unused:UNUSED_PAD src0_sel:DWORD src1_sel:BYTE_0
	v_lshlrev_b32_e32 v25, 2, v21
	v_add3_u32 v17, 0, v15, v17
	s_clause 0x2
	global_load_dwordx4 v[21:24], v25, s[8:9]
	global_load_dwordx4 v[40:43], v25, s[8:9] offset:16
	global_load_dword v25, v25, s[8:9] offset:32
	ds_read_u16 v29, v1 offset:162
	ds_read_u16 v31, v1 offset:324
	;; [unrolled: 1-line block ×7, first 2 shown]
	ds_read_u16 v26, v1
	ds_read_u16 v38, v1 offset:1296
	ds_read_u16 v44, v1 offset:1458
	s_waitcnt vmcnt(0) lgkmcnt(0)
	s_barrier
	buffer_gl0_inv
	v_mul_f16_sdwa v35, v31, v22 dst_sel:DWORD dst_unused:UNUSED_PAD src0_sel:DWORD src1_sel:WORD_1
	v_mul_f16_sdwa v46, v32, v23 dst_sel:DWORD dst_unused:UNUSED_PAD src0_sel:DWORD src1_sel:WORD_1
	;; [unrolled: 1-line block ×17, first 2 shown]
	v_fmac_f16_e32 v35, v19, v22
	v_fmac_f16_e32 v46, v18, v23
	;; [unrolled: 1-line block ×4, first 2 shown]
	v_fma_f16 v18, v34, v40, -v50
	v_fmac_f16_e32 v30, v13, v41
	v_fmac_f16_e32 v52, v12, v42
	v_fma_f16 v14, v37, v42, -v53
	v_fmac_f16_e32 v39, v11, v43
	v_fmac_f16_e32 v55, v10, v25
	v_mul_f16_sdwa v54, v11, v43 dst_sel:DWORD dst_unused:UNUSED_PAD src0_sel:DWORD src1_sel:WORD_1
	v_fma_f16 v19, v32, v23, -v47
	v_fma_f16 v11, v44, v25, -v56
	v_fmac_f16_e32 v27, v20, v21
	v_fma_f16 v20, v29, v21, -v15
	v_fma_f16 v29, v31, v22, -v45
	;; [unrolled: 1-line block ×4, first 2 shown]
	v_sub_f16_e32 v16, v35, v28
	v_sub_f16_e32 v21, v39, v30
	;; [unrolled: 1-line block ×6, first 2 shown]
	v_add_f16_e32 v42, v18, v14
	v_add_f16_e32 v50, v19, v11
	v_add_f16_e32 v10, v9, v35
	v_add_f16_e32 v12, v28, v30
	v_add_f16_e32 v22, v35, v39
	v_add_f16_e32 v25, v27, v46
	v_add_f16_e32 v33, v49, v52
	v_sub_f16_e32 v45, v46, v55
	v_add_f16_e32 v16, v16, v21
	v_add_f16_e32 v21, v23, v24
	;; [unrolled: 1-line block ×3, first 2 shown]
	v_fma_f16 v36, -0.5, v42, v20
	v_fma_f16 v34, v38, v43, -v54
	v_add_f16_e32 v38, v46, v55
	v_sub_f16_e32 v40, v49, v46
	v_sub_f16_e32 v41, v52, v55
	;; [unrolled: 1-line block ×3, first 2 shown]
	v_fma_f16 v37, -0.5, v50, v20
	v_sub_f16_e32 v15, v31, v32
	v_sub_f16_e32 v43, v19, v11
	v_sub_f16_e32 v47, v19, v18
	v_sub_f16_e32 v48, v11, v14
	v_add_f16_e32 v10, v10, v28
	v_fma_f16 v12, -0.5, v12, v9
	v_fmac_f16_e32 v9, -0.5, v22
	v_add_f16_e32 v22, v25, v49
	v_fma_f16 v33, -0.5, v33, v27
	v_fmamk_f16 v42, v45, 0x3b9c, v36
	v_sub_f16_e32 v13, v29, v34
	v_sub_f16_e32 v44, v18, v14
	v_sub_f16_e32 v51, v18, v19
	v_sub_f16_e32 v53, v14, v11
	v_fmac_f16_e32 v27, -0.5, v38
	v_add_f16_e32 v24, v40, v41
	v_fmamk_f16 v41, v46, 0xbb9c, v37
	v_fmac_f16_e32 v37, 0x3b9c, v46
	v_fmac_f16_e32 v36, 0xbb9c, v45
	v_add_f16_e32 v25, v47, v48
	v_add_f16_e32 v10, v10, v30
	v_fmamk_f16 v49, v15, 0x3b9c, v9
	v_fmac_f16_e32 v9, 0xbb9c, v15
	v_add_f16_e32 v22, v22, v52
	v_fmamk_f16 v38, v43, 0xbb9c, v33
	v_fmac_f16_e32 v42, 0x38b4, v46
	;; [unrolled: 3-line block ×3, first 2 shown]
	v_fmamk_f16 v40, v44, 0x3b9c, v27
	v_fmac_f16_e32 v41, 0x38b4, v45
	v_fmac_f16_e32 v27, 0xbb9c, v44
	;; [unrolled: 1-line block ×5, first 2 shown]
	v_add_f16_e32 v10, v10, v39
	v_fmac_f16_e32 v49, 0xb8b4, v13
	v_fmac_f16_e32 v9, 0x38b4, v13
	v_add_f16_e32 v13, v22, v55
	v_fmac_f16_e32 v38, 0xb8b4, v44
	v_fmac_f16_e32 v42, 0x34f2, v25
	;; [unrolled: 1-line block ×11, first 2 shown]
	v_add_f16_e32 v15, v10, v13
	v_sub_f16_e32 v10, v10, v13
	v_mul_f16_e32 v13, 0xb8b4, v42
	v_fmac_f16_e32 v48, 0x34f2, v16
	v_fmac_f16_e32 v12, 0x34f2, v16
	;; [unrolled: 1-line block ×3, first 2 shown]
	v_mul_f16_e32 v16, 0xbb9c, v41
	v_fmac_f16_e32 v49, 0x34f2, v21
	v_fmac_f16_e32 v9, 0x34f2, v21
	;; [unrolled: 1-line block ×3, first 2 shown]
	v_mul_f16_e32 v21, 0xbb9c, v37
	v_fmac_f16_e32 v33, 0x34f2, v23
	v_mul_f16_e32 v22, 0xb8b4, v36
	v_fmac_f16_e32 v13, 0x3a79, v38
	v_fmac_f16_e32 v16, 0x34f2, v40
	ds_write_b16 v17, v15
	v_fmamk_f16 v15, v27, 0xb4f2, v21
	v_fmamk_f16 v21, v33, 0xba79, v22
	ds_write_b16 v17, v10 offset:30
	v_add_f16_e32 v10, v48, v13
	v_add_f16_e32 v22, v49, v16
	v_add_f16_e32 v23, v9, v15
	v_add_f16_e32 v24, v12, v21
	v_sub_f16_e32 v13, v48, v13
	v_sub_f16_e32 v16, v49, v16
	v_sub_f16_e32 v9, v9, v15
	v_sub_f16_e32 v12, v12, v21
	ds_write_b16 v17, v10 offset:6
	ds_write_b16 v17, v22 offset:12
	;; [unrolled: 1-line block ×8, first 2 shown]
	s_waitcnt lgkmcnt(0)
	s_barrier
	buffer_gl0_inv
	ds_read_u16 v16, v1
	ds_read_u16 v13, v1 offset:162
	ds_read_u16 v21, v1 offset:702
	;; [unrolled: 1-line block ×8, first 2 shown]
	s_and_saveexec_b32 s1, vcc_lo
	s_cbranch_execz .LBB0_19
; %bb.18:
	ds_read_u16 v12, v1 offset:486
	ds_read_u16 v5, v1 offset:1026
	;; [unrolled: 1-line block ×3, first 2 shown]
.LBB0_19:
	s_or_b32 exec_lo, exec_lo, s1
	v_add_f16_e32 v43, v31, v32
	v_add_f16_e32 v44, v29, v34
	;; [unrolled: 1-line block ×3, first 2 shown]
	v_sub_f16_e32 v28, v28, v30
	v_add_f16_e32 v19, v20, v19
	v_fma_f16 v43, -0.5, v43, v26
	v_fmac_f16_e32 v26, -0.5, v44
	v_sub_f16_e32 v35, v35, v39
	v_sub_f16_e32 v39, v29, v31
	v_add_f16_e32 v9, v9, v31
	v_sub_f16_e32 v29, v31, v29
	v_fmamk_f16 v44, v28, 0xbb9c, v26
	v_sub_f16_e32 v31, v32, v34
	v_fmac_f16_e32 v26, 0x3b9c, v28
	v_add_f16_e32 v18, v19, v18
	v_sub_f16_e32 v45, v34, v32
	v_fmamk_f16 v30, v35, 0x3b9c, v43
	v_fmac_f16_e32 v44, 0x38b4, v35
	v_add_f16_e32 v20, v29, v31
	v_fmac_f16_e32 v26, 0xb8b4, v35
	v_fmac_f16_e32 v43, 0xbb9c, v35
	v_add_f16_e32 v9, v9, v32
	v_add_f16_e32 v14, v18, v14
	;; [unrolled: 1-line block ×3, first 2 shown]
	v_fmac_f16_e32 v30, 0x38b4, v28
	v_mul_f16_e32 v18, 0x3a79, v42
	v_mul_f16_e32 v19, 0x34f2, v41
	v_fmac_f16_e32 v44, 0x34f2, v20
	v_fmac_f16_e32 v26, 0x34f2, v20
	v_mul_f16_e32 v20, 0x34f2, v37
	v_fmac_f16_e32 v43, 0xb8b4, v28
	v_mul_f16_e32 v28, 0x3a79, v36
	v_add_f16_e32 v9, v9, v34
	v_add_f16_e32 v11, v14, v11
	v_fmac_f16_e32 v30, 0x34f2, v39
	v_fmac_f16_e32 v18, 0x38b4, v38
	;; [unrolled: 1-line block ×3, first 2 shown]
	v_fma_f16 v14, v27, 0x3b9c, -v20
	v_fmac_f16_e32 v43, 0x34f2, v39
	v_fma_f16 v20, v33, 0x38b4, -v28
	v_add_f16_e32 v27, v9, v11
	v_add_f16_e32 v28, v30, v18
	;; [unrolled: 1-line block ×5, first 2 shown]
	v_sub_f16_e32 v9, v9, v11
	v_sub_f16_e32 v11, v30, v18
	;; [unrolled: 1-line block ×5, first 2 shown]
	s_waitcnt lgkmcnt(0)
	s_barrier
	buffer_gl0_inv
	ds_write_b16 v17, v27
	ds_write_b16 v17, v28 offset:6
	ds_write_b16 v17, v29 offset:12
	;; [unrolled: 1-line block ×9, first 2 shown]
	s_waitcnt lgkmcnt(0)
	s_barrier
	buffer_gl0_inv
	ds_read_u16 v18, v1
	ds_read_u16 v19, v1 offset:162
	ds_read_u16 v27, v1 offset:702
	;; [unrolled: 1-line block ×8, first 2 shown]
	s_and_saveexec_b32 s1, vcc_lo
	s_cbranch_execz .LBB0_21
; %bb.20:
	ds_read_u16 v14, v1 offset:486
	ds_read_u16 v7, v1 offset:1026
	;; [unrolled: 1-line block ×3, first 2 shown]
.LBB0_21:
	s_or_b32 exec_lo, exec_lo, s1
	v_add_nc_u32_e32 v11, 0x51, v0
	v_mul_lo_u16 v8, 0x89, v8
	v_add_nc_u32_e32 v9, 0xa2, v0
	v_mov_b32_e32 v34, 0x8889
	v_mov_b32_e32 v38, 3
	v_and_b32_e32 v31, 0xff, v11
	v_lshrrev_b16 v33, 12, v8
	v_add_nc_u32_e32 v8, 0xf3, v0
	v_and_b32_e32 v17, 0xff, v9
	v_mul_lo_u16 v31, 0x89, v31
	v_mul_lo_u16 v35, v33, 30
	v_mul_u32_u24_sdwa v34, v8, v34 dst_sel:DWORD dst_unused:UNUSED_PAD src0_sel:WORD_0 src1_sel:DWORD
	v_mul_lo_u16 v36, 0x89, v17
	v_lshrrev_b16 v31, 12, v31
	v_sub_nc_u16 v35, v0, v35
	v_lshrrev_b32_e32 v34, 20, v34
	v_lshrrev_b16 v39, 12, v36
	v_mul_lo_u16 v36, v31, 30
	v_lshlrev_b32_sdwa v37, v38, v35 dst_sel:DWORD dst_unused:UNUSED_PAD src0_sel:DWORD src1_sel:BYTE_0
	v_mul_lo_u16 v34, v34, 30
	v_mul_lo_u16 v40, v39, 30
	v_sub_nc_u16 v41, v11, v36
	global_load_dwordx2 v[36:37], v37, s[8:9] offset:108
	v_sub_nc_u16 v34, v8, v34
	v_sub_nc_u16 v40, v9, v40
	v_lshlrev_b32_sdwa v42, v38, v41 dst_sel:DWORD dst_unused:UNUSED_PAD src0_sel:DWORD src1_sel:BYTE_0
	v_and_b32_e32 v34, 0xffff, v34
	v_lshlrev_b32_sdwa v38, v38, v40 dst_sel:DWORD dst_unused:UNUSED_PAD src0_sel:DWORD src1_sel:BYTE_0
	global_load_dwordx2 v[46:47], v42, s[8:9] offset:108
	v_lshlrev_b32_e32 v42, 3, v34
	s_clause 0x1
	global_load_dwordx2 v[48:49], v38, s[8:9] offset:108
	global_load_dwordx2 v[50:51], v42, s[8:9] offset:108
	v_mov_b32_e32 v38, 0xb4
	v_mov_b32_e32 v42, 1
	s_waitcnt vmcnt(0) lgkmcnt(0)
	s_barrier
	buffer_gl0_inv
	v_mul_u32_u24_sdwa v33, v33, v38 dst_sel:DWORD dst_unused:UNUSED_PAD src0_sel:WORD_0 src1_sel:DWORD
	v_lshlrev_b32_sdwa v35, v42, v35 dst_sel:DWORD dst_unused:UNUSED_PAD src0_sel:DWORD src1_sel:BYTE_0
	v_mul_u32_u24_sdwa v43, v31, v38 dst_sel:DWORD dst_unused:UNUSED_PAD src0_sel:WORD_0 src1_sel:DWORD
	v_mul_u32_u24_sdwa v38, v39, v38 dst_sel:DWORD dst_unused:UNUSED_PAD src0_sel:WORD_0 src1_sel:DWORD
	v_lshlrev_b32_sdwa v39, v42, v40 dst_sel:DWORD dst_unused:UNUSED_PAD src0_sel:DWORD src1_sel:BYTE_0
	v_lshl_add_u32 v31, v34, 1, 0
	v_add3_u32 v33, 0, v33, v35
	v_lshlrev_b32_sdwa v35, v42, v41 dst_sel:DWORD dst_unused:UNUSED_PAD src0_sel:DWORD src1_sel:BYTE_0
	v_add3_u32 v34, 0, v43, v35
	v_add3_u32 v35, 0, v38, v39
	v_mul_f16_sdwa v40, v25, v36 dst_sel:DWORD dst_unused:UNUSED_PAD src0_sel:DWORD src1_sel:WORD_1
	v_mul_f16_sdwa v43, v30, v37 dst_sel:DWORD dst_unused:UNUSED_PAD src0_sel:DWORD src1_sel:WORD_1
	;; [unrolled: 1-line block ×4, first 2 shown]
	v_fma_f16 v44, v32, v36, -v40
	v_fmac_f16_e32 v43, v24, v37
	v_fma_f16 v39, v30, v37, -v42
	v_fmac_f16_e32 v41, v25, v36
	v_mul_f16_sdwa v40, v27, v46 dst_sel:DWORD dst_unused:UNUSED_PAD src0_sel:DWORD src1_sel:WORD_1
	v_mul_f16_sdwa v42, v26, v47 dst_sel:DWORD dst_unused:UNUSED_PAD src0_sel:DWORD src1_sel:WORD_1
	;; [unrolled: 1-line block ×4, first 2 shown]
	v_add_f16_e32 v56, v41, v43
	v_mul_f16_sdwa v30, v28, v48 dst_sel:DWORD dst_unused:UNUSED_PAD src0_sel:DWORD src1_sel:WORD_1
	v_mul_f16_sdwa v32, v7, v50 dst_sel:DWORD dst_unused:UNUSED_PAD src0_sel:DWORD src1_sel:WORD_1
	;; [unrolled: 1-line block ×6, first 2 shown]
	v_fmac_f16_e32 v32, v5, v50
	v_fmac_f16_e32 v37, v4, v51
	;; [unrolled: 1-line block ×4, first 2 shown]
	v_mul_f16_sdwa v38, v22, v48 dst_sel:DWORD dst_unused:UNUSED_PAD src0_sel:DWORD src1_sel:WORD_1
	v_mul_f16_sdwa v52, v23, v49 dst_sel:DWORD dst_unused:UNUSED_PAD src0_sel:DWORD src1_sel:WORD_1
	v_fmac_f16_e32 v30, v22, v48
	v_fmac_f16_e32 v36, v23, v49
	v_add_f16_e32 v55, v16, v41
	v_fma_f16 v46, v27, v46, -v24
	v_fma_f16 v5, v7, v50, -v53
	;; [unrolled: 1-line block ×3, first 2 shown]
	v_add_f16_e32 v27, v32, v37
	v_sub_f16_e32 v57, v44, v39
	v_fma_f16 v45, v26, v47, -v25
	v_fmac_f16_e32 v16, -0.5, v56
	v_add_f16_e32 v21, v40, v42
	v_fma_f16 v38, v28, v48, -v38
	v_fma_f16 v29, v29, v49, -v52
	v_add_f16_e32 v24, v30, v36
	v_add_f16_e32 v6, v55, v43
	;; [unrolled: 1-line block ×4, first 2 shown]
	v_sub_f16_e32 v28, v5, v4
	v_fmac_f16_e32 v12, -0.5, v27
	v_fmamk_f16 v7, v57, 0xbaee, v16
	v_sub_f16_e32 v22, v46, v45
	v_fmac_f16_e32 v13, -0.5, v21
	v_fmac_f16_e32 v16, 0x3aee, v57
	v_add_f16_e32 v23, v15, v30
	v_sub_f16_e32 v25, v38, v29
	v_fmac_f16_e32 v15, -0.5, v24
	ds_write_b16 v33, v6
	v_add_f16_e32 v6, v10, v42
	v_add_f16_e32 v10, v26, v37
	v_fmamk_f16 v21, v28, 0xbaee, v12
	v_fmac_f16_e32 v12, 0x3aee, v28
	ds_write_b16 v33, v7 offset:60
	ds_write_b16 v33, v16 offset:120
	v_fmamk_f16 v7, v22, 0xbaee, v13
	v_fmac_f16_e32 v13, 0x3aee, v22
	v_add_f16_e32 v23, v23, v36
	v_fmamk_f16 v16, v25, 0xbaee, v15
	v_fmac_f16_e32 v15, 0x3aee, v25
	ds_write_b16 v34, v6
	ds_write_b16 v34, v7 offset:60
	ds_write_b16 v34, v13 offset:120
	ds_write_b16 v35, v23
	ds_write_b16 v35, v16 offset:60
	ds_write_b16 v35, v15 offset:120
	s_and_saveexec_b32 s1, vcc_lo
	s_cbranch_execz .LBB0_23
; %bb.22:
	ds_write_b16 v31, v10 offset:1440
	ds_write_b16 v31, v21 offset:1500
	ds_write_b16 v31, v12 offset:1560
.LBB0_23:
	s_or_b32 exec_lo, exec_lo, s1
	s_waitcnt lgkmcnt(0)
	s_barrier
	buffer_gl0_inv
	ds_read_u16 v22, v1
	ds_read_u16 v6, v1 offset:162
	ds_read_u16 v24, v1 offset:702
	;; [unrolled: 1-line block ×8, first 2 shown]
	s_and_saveexec_b32 s1, vcc_lo
	s_cbranch_execz .LBB0_25
; %bb.24:
	ds_read_u16 v10, v1 offset:486
	ds_read_u16 v21, v1 offset:1026
	;; [unrolled: 1-line block ×3, first 2 shown]
.LBB0_25:
	s_or_b32 exec_lo, exec_lo, s1
	v_add_f16_e32 v7, v44, v39
	v_sub_f16_e32 v16, v41, v43
	v_add_f16_e32 v41, v46, v45
	v_add_f16_e32 v13, v18, v44
	v_sub_f16_e32 v40, v40, v42
	v_fmac_f16_e32 v18, -0.5, v7
	v_add_f16_e32 v7, v19, v46
	v_fmac_f16_e32 v19, -0.5, v41
	v_add_f16_e32 v39, v13, v39
	v_add_f16_e32 v13, v38, v29
	v_fmamk_f16 v41, v16, 0x3aee, v18
	v_fmac_f16_e32 v18, 0xbaee, v16
	v_fmamk_f16 v16, v40, 0x3aee, v19
	v_fmac_f16_e32 v19, 0xbaee, v40
	v_add_f16_e32 v40, v5, v4
	v_add_f16_e32 v38, v20, v38
	v_fmac_f16_e32 v20, -0.5, v13
	v_sub_f16_e32 v13, v30, v36
	v_add_f16_e32 v5, v14, v5
	v_fmac_f16_e32 v14, -0.5, v40
	v_sub_f16_e32 v30, v32, v37
	v_add_f16_e32 v32, v38, v29
	v_fmamk_f16 v36, v13, 0x3aee, v20
	v_fmac_f16_e32 v20, 0xbaee, v13
	v_add_f16_e32 v13, v5, v4
	v_fmamk_f16 v29, v30, 0x3aee, v14
	v_fmac_f16_e32 v14, 0xbaee, v30
	v_add_f16_e32 v7, v7, v45
	s_waitcnt lgkmcnt(0)
	s_barrier
	buffer_gl0_inv
	ds_write_b16 v33, v39
	ds_write_b16 v33, v41 offset:60
	ds_write_b16 v33, v18 offset:120
	ds_write_b16 v34, v7
	ds_write_b16 v34, v16 offset:60
	ds_write_b16 v34, v19 offset:120
	;; [unrolled: 3-line block ×3, first 2 shown]
	s_and_saveexec_b32 s1, vcc_lo
	s_cbranch_execz .LBB0_27
; %bb.26:
	ds_write_b16 v31, v13 offset:1440
	ds_write_b16 v31, v29 offset:1500
	;; [unrolled: 1-line block ×3, first 2 shown]
.LBB0_27:
	s_or_b32 exec_lo, exec_lo, s1
	s_waitcnt lgkmcnt(0)
	s_barrier
	buffer_gl0_inv
	ds_read_u16 v7, v1
	ds_read_u16 v16, v1 offset:162
	ds_read_u16 v20, v1 offset:702
	;; [unrolled: 1-line block ×8, first 2 shown]
	s_and_saveexec_b32 s1, vcc_lo
	s_cbranch_execz .LBB0_29
; %bb.28:
	ds_read_u16 v13, v1 offset:486
	ds_read_u16 v29, v1 offset:1026
	ds_read_u16 v14, v1 offset:1566
.LBB0_29:
	s_or_b32 exec_lo, exec_lo, s1
	v_add_nc_u32_e32 v4, -9, v0
	v_cmp_gt_u32_e64 s1, 9, v0
	v_lshlrev_b32_e32 v33, 1, v0
	v_mul_lo_u16 v5, 0xb7, v17
	v_mov_b32_e32 v34, 0
	v_mov_b32_e32 v39, 0x2d83
	v_cndmask_b32_e64 v17, v4, v11, s1
	v_lshrrev_b16 v38, 14, v5
	v_lshlrev_b64 v[4:5], 2, v[33:34]
	v_mul_u32_u24_sdwa v39, v8, v39 dst_sel:DWORD dst_unused:UNUSED_PAD src0_sel:WORD_0 src1_sel:DWORD
	v_lshlrev_b32_e32 v33, 1, v17
	v_mul_lo_u16 v17, 0x5a, v38
	v_add_co_u32 v4, s1, s8, v4
	v_lshlrev_b64 v[36:37], 2, v[33:34]
	v_add_co_ci_u32_e64 v5, s1, s9, v5, s1
	v_mov_b32_e32 v34, 3
	v_sub_nc_u16 v17, v9, v17
	v_lshrrev_b32_e32 v39, 20, v39
	v_add_co_u32 v36, s1, s8, v36
	v_add_co_ci_u32_e64 v37, s1, s9, v37, s1
	global_load_dwordx2 v[41:42], v[4:5], off offset:348
	v_lshlrev_b32_sdwa v34, v34, v17 dst_sel:DWORD dst_unused:UNUSED_PAD src0_sel:DWORD src1_sel:BYTE_0
	v_cmp_lt_u32_e64 s1, 8, v0
	global_load_dwordx2 v[45:46], v[36:37], off offset:348
	v_mul_lo_u16 v36, 0x5a, v39
	global_load_dwordx2 v[47:48], v34, s[8:9] offset:348
	v_cndmask_b32_e64 v37, 0, 0x21c, s1
	v_sub_nc_u16 v34, v8, v36
	v_mov_b32_e32 v36, 1
	v_and_b32_e32 v51, 0xffff, v34
	v_lshlrev_b32_sdwa v17, v36, v17 dst_sel:DWORD dst_unused:UNUSED_PAD src0_sel:DWORD src1_sel:BYTE_0
	v_lshlrev_b32_e32 v34, 3, v51
	global_load_dwordx2 v[49:50], v34, s[8:9] offset:348
	v_mov_b32_e32 v34, 0x21c
	s_waitcnt vmcnt(0) lgkmcnt(0)
	s_barrier
	buffer_gl0_inv
	v_mul_u32_u24_sdwa v38, v38, v34 dst_sel:DWORD dst_unused:UNUSED_PAD src0_sel:WORD_0 src1_sel:DWORD
	v_add3_u32 v34, 0, v37, v33
	v_add3_u32 v33, 0, v38, v17
	v_mul_f16_sdwa v38, v35, v41 dst_sel:DWORD dst_unused:UNUSED_PAD src0_sel:DWORD src1_sel:WORD_1
	v_mul_f16_sdwa v17, v28, v41 dst_sel:DWORD dst_unused:UNUSED_PAD src0_sel:DWORD src1_sel:WORD_1
	;; [unrolled: 1-line block ×5, first 2 shown]
	v_fmac_f16_e32 v38, v28, v41
	v_fma_f16 v44, v35, v41, -v17
	v_mul_f16_sdwa v17, v24, v45 dst_sel:DWORD dst_unused:UNUSED_PAD src0_sel:DWORD src1_sel:WORD_1
	v_mul_f16_sdwa v35, v25, v47 dst_sel:DWORD dst_unused:UNUSED_PAD src0_sel:DWORD src1_sel:WORD_1
	;; [unrolled: 1-line block ×3, first 2 shown]
	v_fmac_f16_e32 v40, v27, v42
	v_fma_f16 v36, v32, v42, -v36
	v_mul_f16_sdwa v39, v19, v46 dst_sel:DWORD dst_unused:UNUSED_PAD src0_sel:DWORD src1_sel:WORD_1
	v_mul_f16_sdwa v27, v23, v46 dst_sel:DWORD dst_unused:UNUSED_PAD src0_sel:DWORD src1_sel:WORD_1
	;; [unrolled: 1-line block ×4, first 2 shown]
	v_fmac_f16_e32 v37, v24, v45
	v_fma_f16 v45, v20, v45, -v17
	v_fma_f16 v35, v30, v47, -v35
	;; [unrolled: 1-line block ×3, first 2 shown]
	v_add_f16_e32 v43, v22, v38
	v_add_f16_e32 v52, v38, v40
	v_fmac_f16_e32 v39, v23, v46
	v_fma_f16 v42, v19, v46, -v27
	v_mul_f16_sdwa v30, v29, v49 dst_sel:DWORD dst_unused:UNUSED_PAD src0_sel:DWORD src1_sel:WORD_1
	v_mul_f16_sdwa v31, v14, v50 dst_sel:DWORD dst_unused:UNUSED_PAD src0_sel:DWORD src1_sel:WORD_1
	;; [unrolled: 1-line block ×4, first 2 shown]
	v_fmac_f16_e32 v28, v25, v47
	v_fmac_f16_e32 v30, v21, v49
	;; [unrolled: 1-line block ×4, first 2 shown]
	v_sub_f16_e32 v53, v44, v36
	v_add_f16_e32 v17, v43, v40
	v_fmac_f16_e32 v22, -0.5, v52
	v_add_f16_e32 v25, v6, v37
	v_add_f16_e32 v26, v37, v39
	v_fma_f16 v43, v29, v49, -v19
	v_fma_f16 v41, v14, v50, -v23
	v_add_f16_e32 v19, v30, v31
	v_add_f16_e32 v47, v28, v32
	v_fmamk_f16 v24, v53, 0xbaee, v22
	v_sub_f16_e32 v27, v45, v42
	v_add_f16_e32 v12, v25, v39
	v_fmac_f16_e32 v6, -0.5, v26
	v_add_f16_e32 v14, v10, v30
	v_sub_f16_e32 v21, v43, v41
	v_fmac_f16_e32 v10, -0.5, v19
	v_fmac_f16_e32 v22, 0x3aee, v53
	v_add_f16_e32 v46, v15, v28
	v_sub_f16_e32 v48, v35, v20
	v_fmac_f16_e32 v15, -0.5, v47
	ds_write_b16 v1, v17
	ds_write_b16 v1, v24 offset:180
	ds_write_b16 v1, v22 offset:360
	v_fmamk_f16 v22, v27, 0xbaee, v6
	v_fmac_f16_e32 v6, 0x3aee, v27
	ds_write_b16 v34, v12
	v_add_f16_e32 v12, v14, v31
	v_fmamk_f16 v14, v21, 0xbaee, v10
	v_fmac_f16_e32 v10, 0x3aee, v21
	v_lshl_add_u32 v29, v51, 1, 0
	v_add_f16_e32 v17, v46, v32
	v_fmamk_f16 v23, v48, 0xbaee, v15
	v_fmac_f16_e32 v15, 0x3aee, v48
	ds_write_b16 v34, v22 offset:180
	ds_write_b16 v34, v6 offset:360
	ds_write_b16 v33, v17
	ds_write_b16 v33, v23 offset:180
	ds_write_b16 v33, v15 offset:360
	s_and_saveexec_b32 s1, vcc_lo
	s_cbranch_execz .LBB0_31
; %bb.30:
	ds_write_b16 v29, v12 offset:1080
	ds_write_b16 v29, v14 offset:1260
	;; [unrolled: 1-line block ×3, first 2 shown]
.LBB0_31:
	s_or_b32 exec_lo, exec_lo, s1
	s_waitcnt lgkmcnt(0)
	s_barrier
	buffer_gl0_inv
	ds_read_u16 v17, v1
	ds_read_u16 v19, v1 offset:162
	ds_read_u16 v23, v1 offset:702
	;; [unrolled: 1-line block ×8, first 2 shown]
	s_and_saveexec_b32 s1, vcc_lo
	s_cbranch_execz .LBB0_33
; %bb.32:
	ds_read_u16 v12, v1 offset:486
	ds_read_u16 v14, v1 offset:1026
	;; [unrolled: 1-line block ×3, first 2 shown]
.LBB0_33:
	s_or_b32 exec_lo, exec_lo, s1
	v_add_f16_e32 v6, v44, v36
	v_sub_f16_e32 v38, v38, v40
	v_add_f16_e32 v40, v45, v42
	v_add_f16_e32 v15, v7, v44
	v_sub_f16_e32 v37, v37, v39
	v_fmac_f16_e32 v7, -0.5, v6
	v_add_f16_e32 v6, v16, v45
	v_fmac_f16_e32 v16, -0.5, v40
	v_add_f16_e32 v36, v15, v36
	v_add_f16_e32 v15, v35, v20
	v_fmamk_f16 v39, v38, 0x3aee, v7
	v_fmac_f16_e32 v7, 0xbaee, v38
	v_fmamk_f16 v38, v37, 0x3aee, v16
	v_fmac_f16_e32 v16, 0xbaee, v37
	v_add_f16_e32 v37, v43, v41
	v_add_f16_e32 v35, v18, v35
	v_fmac_f16_e32 v18, -0.5, v15
	v_sub_f16_e32 v15, v28, v32
	v_add_f16_e32 v28, v13, v43
	v_fmac_f16_e32 v13, -0.5, v37
	v_sub_f16_e32 v30, v30, v31
	v_add_f16_e32 v31, v35, v20
	v_fmamk_f16 v32, v15, 0x3aee, v18
	v_fmac_f16_e32 v18, 0xbaee, v15
	v_add_f16_e32 v15, v28, v41
	v_fmamk_f16 v20, v30, 0x3aee, v13
	v_fmac_f16_e32 v13, 0xbaee, v30
	v_add_f16_e32 v6, v6, v42
	s_waitcnt lgkmcnt(0)
	s_barrier
	buffer_gl0_inv
	ds_write_b16 v1, v36
	ds_write_b16 v1, v39 offset:180
	ds_write_b16 v1, v7 offset:360
	ds_write_b16 v34, v6
	ds_write_b16 v34, v38 offset:180
	ds_write_b16 v34, v16 offset:360
	;; [unrolled: 3-line block ×3, first 2 shown]
	s_and_saveexec_b32 s1, vcc_lo
	s_cbranch_execz .LBB0_35
; %bb.34:
	ds_write_b16 v29, v15 offset:1080
	ds_write_b16 v29, v20 offset:1260
	;; [unrolled: 1-line block ×3, first 2 shown]
.LBB0_35:
	s_or_b32 exec_lo, exec_lo, s1
	s_waitcnt lgkmcnt(0)
	s_barrier
	buffer_gl0_inv
	ds_read_u16 v16, v1
	ds_read_u16 v18, v1 offset:162
	ds_read_u16 v30, v1 offset:702
	;; [unrolled: 1-line block ×8, first 2 shown]
	s_and_saveexec_b32 s1, vcc_lo
	s_cbranch_execz .LBB0_37
; %bb.36:
	ds_read_u16 v15, v1 offset:486
	ds_read_u16 v20, v1 offset:1026
	;; [unrolled: 1-line block ×3, first 2 shown]
.LBB0_37:
	s_or_b32 exec_lo, exec_lo, s1
	s_and_saveexec_b32 s1, s0
	s_cbranch_execz .LBB0_40
; %bb.38:
	v_lshlrev_b32_e32 v6, 1, v9
	v_mov_b32_e32 v7, 0
	v_lshlrev_b64 v[35:36], 2, v[6:7]
	v_lshlrev_b32_e32 v6, 1, v11
	v_mov_b32_e32 v1, v7
	v_lshlrev_b64 v[37:38], 2, v[6:7]
	v_add_co_u32 v35, s0, s8, v35
	v_add_co_ci_u32_e64 v36, s0, s9, v36, s0
	v_add_co_u32 v37, s0, s8, v37
	global_load_dwordx2 v[35:36], v[35:36], off offset:1068
	v_add_co_ci_u32_e64 v38, s0, s9, v38, s0
	s_clause 0x1
	global_load_dwordx2 v[37:38], v[37:38], off offset:1068
	global_load_dwordx2 v[39:40], v[4:5], off offset:1068
	v_mul_hi_u32 v4, 0xf2b9d649, v9
	v_lshrrev_b32_e32 v6, 8, v4
	v_lshlrev_b64 v[4:5], 2, v[0:1]
	v_add_co_u32 v1, s0, s2, v2
	v_add_co_ci_u32_e64 v2, s0, s3, v3, s0
	v_mul_u32_u24_e32 v6, 0x21c, v6
	v_add_co_u32 v1, s0, v1, v4
	v_add_co_ci_u32_e64 v2, s0, v2, v5, s0
	v_lshlrev_b64 v[5:6], 2, v[6:7]
	v_add_co_u32 v3, s0, 0x800, v1
	v_add_co_ci_u32_e64 v4, s0, 0, v2, s0
	v_add_co_u32 v5, s0, v1, v5
	v_add_co_ci_u32_e64 v6, s0, v2, v6, s0
	;; [unrolled: 2-line block ×3, first 2 shown]
	s_waitcnt vmcnt(2)
	v_mul_f16_sdwa v9, v26, v35 dst_sel:DWORD dst_unused:UNUSED_PAD src0_sel:DWORD src1_sel:WORD_1
	v_mul_f16_sdwa v11, v27, v36 dst_sel:DWORD dst_unused:UNUSED_PAD src0_sel:DWORD src1_sel:WORD_1
	s_waitcnt lgkmcnt(3)
	v_mul_f16_sdwa v43, v33, v35 dst_sel:DWORD dst_unused:UNUSED_PAD src0_sel:DWORD src1_sel:WORD_1
	s_waitcnt lgkmcnt(0)
	v_mul_f16_sdwa v44, v34, v36 dst_sel:DWORD dst_unused:UNUSED_PAD src0_sel:DWORD src1_sel:WORD_1
	v_fma_f16 v9, v33, v35, -v9
	v_fma_f16 v11, v34, v36, -v11
	v_fmac_f16_e32 v43, v26, v35
	v_fmac_f16_e32 v44, v27, v36
	s_waitcnt vmcnt(1)
	v_mul_f16_sdwa v26, v23, v37 dst_sel:DWORD dst_unused:UNUSED_PAD src0_sel:DWORD src1_sel:WORD_1
	v_mul_f16_sdwa v27, v24, v38 dst_sel:DWORD dst_unused:UNUSED_PAD src0_sel:DWORD src1_sel:WORD_1
	;; [unrolled: 1-line block ×4, first 2 shown]
	s_waitcnt vmcnt(0)
	v_mul_f16_sdwa v35, v25, v39 dst_sel:DWORD dst_unused:UNUSED_PAD src0_sel:DWORD src1_sel:WORD_1
	v_mul_f16_sdwa v36, v21, v40 dst_sel:DWORD dst_unused:UNUSED_PAD src0_sel:DWORD src1_sel:WORD_1
	;; [unrolled: 1-line block ×4, first 2 shown]
	v_add_f16_e32 v47, v9, v11
	v_add_f16_e32 v50, v43, v44
	v_fma_f16 v26, v30, v37, -v26
	v_fma_f16 v27, v31, v38, -v27
	v_fmac_f16_e32 v33, v23, v37
	v_fmac_f16_e32 v34, v24, v38
	v_fma_f16 v23, v32, v39, -v35
	v_fma_f16 v24, v28, v40, -v36
	v_fmac_f16_e32 v45, v25, v39
	v_fmac_f16_e32 v46, v21, v40
	v_sub_f16_e32 v48, v43, v44
	v_add_f16_e32 v49, v29, v9
	v_sub_f16_e32 v9, v9, v11
	v_add_f16_e32 v43, v22, v43
	v_fma_f16 v21, -0.5, v47, v29
	v_fma_f16 v22, -0.5, v50, v22
	v_add_f16_e32 v28, v26, v27
	v_sub_f16_e32 v29, v33, v34
	v_add_f16_e32 v31, v33, v34
	v_add_f16_e32 v32, v19, v33
	;; [unrolled: 1-line block ×9, first 2 shown]
	v_sub_f16_e32 v26, v26, v27
	v_sub_f16_e32 v35, v45, v46
	;; [unrolled: 1-line block ×3, first 2 shown]
	v_fmamk_f16 v40, v9, 0x3aee, v22
	v_fmac_f16_e32 v22, 0xbaee, v9
	v_fma_f16 v9, -0.5, v28, v18
	v_fma_f16 v19, -0.5, v31, v19
	v_fma_f16 v16, -0.5, v33, v16
	v_fma_f16 v17, -0.5, v37, v17
	v_add_f16_e32 v18, v30, v27
	v_add_f16_e32 v27, v32, v34
	;; [unrolled: 1-line block ×4, first 2 shown]
	v_pack_b32_f16 v11, v25, v11
	v_fmamk_f16 v25, v29, 0xbaee, v9
	v_fmac_f16_e32 v9, 0x3aee, v29
	v_fmamk_f16 v29, v26, 0x3aee, v19
	v_fmac_f16_e32 v19, 0xbaee, v26
	;; [unrolled: 2-line block ×5, first 2 shown]
	v_pack_b32_f16 v24, v28, v24
	v_pack_b32_f16 v18, v27, v18
	;; [unrolled: 1-line block ×8, first 2 shown]
	global_store_dword v[1:2], v24, off
	global_store_dword v[1:2], v18, off offset:324
	global_store_dword v[1:2], v16, off offset:1080
	;; [unrolled: 1-line block ×8, first 2 shown]
	s_and_b32 exec_lo, exec_lo, vcc_lo
	s_cbranch_execz .LBB0_40
; %bb.39:
	v_subrev_nc_u32_e32 v0, 27, v0
	v_cndmask_b32_e32 v0, v0, v8, vcc_lo
	v_lshlrev_b32_e32 v6, 1, v0
	v_lshlrev_b64 v[5:6], 2, v[6:7]
	v_add_co_u32 v5, vcc_lo, s8, v5
	v_add_co_ci_u32_e32 v6, vcc_lo, s9, v6, vcc_lo
	global_load_dwordx2 v[5:6], v[5:6], off offset:1068
	s_waitcnt vmcnt(0)
	v_mul_f16_sdwa v0, v20, v5 dst_sel:DWORD dst_unused:UNUSED_PAD src0_sel:DWORD src1_sel:WORD_1
	v_mul_f16_sdwa v7, v13, v6 dst_sel:DWORD dst_unused:UNUSED_PAD src0_sel:DWORD src1_sel:WORD_1
	v_mul_f16_sdwa v8, v14, v5 dst_sel:DWORD dst_unused:UNUSED_PAD src0_sel:DWORD src1_sel:WORD_1
	v_mul_f16_sdwa v9, v10, v6 dst_sel:DWORD dst_unused:UNUSED_PAD src0_sel:DWORD src1_sel:WORD_1
	v_fmac_f16_e32 v0, v14, v5
	v_fmac_f16_e32 v7, v10, v6
	v_fma_f16 v5, v20, v5, -v8
	v_fma_f16 v6, v13, v6, -v9
	v_add_f16_e32 v9, v12, v0
	v_add_f16_e32 v8, v0, v7
	v_sub_f16_e32 v0, v0, v7
	v_add_f16_e32 v10, v5, v6
	v_sub_f16_e32 v11, v5, v6
	v_add_f16_e32 v5, v15, v5
	v_fmac_f16_e32 v12, -0.5, v8
	v_add_f16_e32 v7, v9, v7
	v_fmac_f16_e32 v15, -0.5, v10
	v_add_f16_e32 v5, v5, v6
	v_fmamk_f16 v6, v11, 0xbaee, v12
	v_fmac_f16_e32 v12, 0x3aee, v11
	v_fmamk_f16 v8, v0, 0x3aee, v15
	v_fmac_f16_e32 v15, 0xbaee, v0
	v_pack_b32_f16 v0, v7, v5
	v_pack_b32_f16 v5, v6, v8
	;; [unrolled: 1-line block ×3, first 2 shown]
	global_store_dword v[1:2], v0, off offset:972
	global_store_dword v[3:4], v5, off offset:4
	;; [unrolled: 1-line block ×3, first 2 shown]
.LBB0_40:
	s_endpgm
	.section	.rodata,"a",@progbits
	.p2align	6, 0x0
	.amdhsa_kernel fft_rtc_back_len810_factors_3_10_3_3_3_wgs_81_tpt_81_halfLds_half_ip_CI_unitstride_sbrr_dirReg
		.amdhsa_group_segment_fixed_size 0
		.amdhsa_private_segment_fixed_size 0
		.amdhsa_kernarg_size 88
		.amdhsa_user_sgpr_count 6
		.amdhsa_user_sgpr_private_segment_buffer 1
		.amdhsa_user_sgpr_dispatch_ptr 0
		.amdhsa_user_sgpr_queue_ptr 0
		.amdhsa_user_sgpr_kernarg_segment_ptr 1
		.amdhsa_user_sgpr_dispatch_id 0
		.amdhsa_user_sgpr_flat_scratch_init 0
		.amdhsa_user_sgpr_private_segment_size 0
		.amdhsa_wavefront_size32 1
		.amdhsa_uses_dynamic_stack 0
		.amdhsa_system_sgpr_private_segment_wavefront_offset 0
		.amdhsa_system_sgpr_workgroup_id_x 1
		.amdhsa_system_sgpr_workgroup_id_y 0
		.amdhsa_system_sgpr_workgroup_id_z 0
		.amdhsa_system_sgpr_workgroup_info 0
		.amdhsa_system_vgpr_workitem_id 0
		.amdhsa_next_free_vgpr 58
		.amdhsa_next_free_sgpr 21
		.amdhsa_reserve_vcc 1
		.amdhsa_reserve_flat_scratch 0
		.amdhsa_float_round_mode_32 0
		.amdhsa_float_round_mode_16_64 0
		.amdhsa_float_denorm_mode_32 3
		.amdhsa_float_denorm_mode_16_64 3
		.amdhsa_dx10_clamp 1
		.amdhsa_ieee_mode 1
		.amdhsa_fp16_overflow 0
		.amdhsa_workgroup_processor_mode 1
		.amdhsa_memory_ordered 1
		.amdhsa_forward_progress 0
		.amdhsa_shared_vgpr_count 0
		.amdhsa_exception_fp_ieee_invalid_op 0
		.amdhsa_exception_fp_denorm_src 0
		.amdhsa_exception_fp_ieee_div_zero 0
		.amdhsa_exception_fp_ieee_overflow 0
		.amdhsa_exception_fp_ieee_underflow 0
		.amdhsa_exception_fp_ieee_inexact 0
		.amdhsa_exception_int_div_zero 0
	.end_amdhsa_kernel
	.text
.Lfunc_end0:
	.size	fft_rtc_back_len810_factors_3_10_3_3_3_wgs_81_tpt_81_halfLds_half_ip_CI_unitstride_sbrr_dirReg, .Lfunc_end0-fft_rtc_back_len810_factors_3_10_3_3_3_wgs_81_tpt_81_halfLds_half_ip_CI_unitstride_sbrr_dirReg
                                        ; -- End function
	.section	.AMDGPU.csdata,"",@progbits
; Kernel info:
; codeLenInByte = 7520
; NumSgprs: 23
; NumVgprs: 58
; ScratchSize: 0
; MemoryBound: 0
; FloatMode: 240
; IeeeMode: 1
; LDSByteSize: 0 bytes/workgroup (compile time only)
; SGPRBlocks: 2
; VGPRBlocks: 7
; NumSGPRsForWavesPerEU: 23
; NumVGPRsForWavesPerEU: 58
; Occupancy: 16
; WaveLimiterHint : 1
; COMPUTE_PGM_RSRC2:SCRATCH_EN: 0
; COMPUTE_PGM_RSRC2:USER_SGPR: 6
; COMPUTE_PGM_RSRC2:TRAP_HANDLER: 0
; COMPUTE_PGM_RSRC2:TGID_X_EN: 1
; COMPUTE_PGM_RSRC2:TGID_Y_EN: 0
; COMPUTE_PGM_RSRC2:TGID_Z_EN: 0
; COMPUTE_PGM_RSRC2:TIDIG_COMP_CNT: 0
	.text
	.p2alignl 6, 3214868480
	.fill 48, 4, 3214868480
	.type	__hip_cuid_6720c9361a267871,@object ; @__hip_cuid_6720c9361a267871
	.section	.bss,"aw",@nobits
	.globl	__hip_cuid_6720c9361a267871
__hip_cuid_6720c9361a267871:
	.byte	0                               ; 0x0
	.size	__hip_cuid_6720c9361a267871, 1

	.ident	"AMD clang version 19.0.0git (https://github.com/RadeonOpenCompute/llvm-project roc-6.4.0 25133 c7fe45cf4b819c5991fe208aaa96edf142730f1d)"
	.section	".note.GNU-stack","",@progbits
	.addrsig
	.addrsig_sym __hip_cuid_6720c9361a267871
	.amdgpu_metadata
---
amdhsa.kernels:
  - .args:
      - .actual_access:  read_only
        .address_space:  global
        .offset:         0
        .size:           8
        .value_kind:     global_buffer
      - .offset:         8
        .size:           8
        .value_kind:     by_value
      - .actual_access:  read_only
        .address_space:  global
        .offset:         16
        .size:           8
        .value_kind:     global_buffer
      - .actual_access:  read_only
        .address_space:  global
        .offset:         24
        .size:           8
        .value_kind:     global_buffer
      - .offset:         32
        .size:           8
        .value_kind:     by_value
      - .actual_access:  read_only
        .address_space:  global
        .offset:         40
        .size:           8
        .value_kind:     global_buffer
      - .actual_access:  read_only
        .address_space:  global
        .offset:         48
        .size:           8
        .value_kind:     global_buffer
      - .offset:         56
        .size:           4
        .value_kind:     by_value
      - .actual_access:  read_only
        .address_space:  global
        .offset:         64
        .size:           8
        .value_kind:     global_buffer
      - .actual_access:  read_only
        .address_space:  global
        .offset:         72
        .size:           8
        .value_kind:     global_buffer
      - .address_space:  global
        .offset:         80
        .size:           8
        .value_kind:     global_buffer
    .group_segment_fixed_size: 0
    .kernarg_segment_align: 8
    .kernarg_segment_size: 88
    .language:       OpenCL C
    .language_version:
      - 2
      - 0
    .max_flat_workgroup_size: 81
    .name:           fft_rtc_back_len810_factors_3_10_3_3_3_wgs_81_tpt_81_halfLds_half_ip_CI_unitstride_sbrr_dirReg
    .private_segment_fixed_size: 0
    .sgpr_count:     23
    .sgpr_spill_count: 0
    .symbol:         fft_rtc_back_len810_factors_3_10_3_3_3_wgs_81_tpt_81_halfLds_half_ip_CI_unitstride_sbrr_dirReg.kd
    .uniform_work_group_size: 1
    .uses_dynamic_stack: false
    .vgpr_count:     58
    .vgpr_spill_count: 0
    .wavefront_size: 32
    .workgroup_processor_mode: 1
amdhsa.target:   amdgcn-amd-amdhsa--gfx1030
amdhsa.version:
  - 1
  - 2
...

	.end_amdgpu_metadata
